;; amdgpu-corpus repo=ROCm/rocFFT kind=compiled arch=gfx950 opt=O3
	.text
	.amdgcn_target "amdgcn-amd-amdhsa--gfx950"
	.amdhsa_code_object_version 6
	.protected	fft_rtc_back_len819_factors_9_7_13_wgs_117_tpt_117_dp_ip_CI_sbrr_dirReg ; -- Begin function fft_rtc_back_len819_factors_9_7_13_wgs_117_tpt_117_dp_ip_CI_sbrr_dirReg
	.globl	fft_rtc_back_len819_factors_9_7_13_wgs_117_tpt_117_dp_ip_CI_sbrr_dirReg
	.p2align	8
	.type	fft_rtc_back_len819_factors_9_7_13_wgs_117_tpt_117_dp_ip_CI_sbrr_dirReg,@function
fft_rtc_back_len819_factors_9_7_13_wgs_117_tpt_117_dp_ip_CI_sbrr_dirReg: ; @fft_rtc_back_len819_factors_9_7_13_wgs_117_tpt_117_dp_ip_CI_sbrr_dirReg
; %bb.0:
	s_load_dwordx2 s[12:13], s[0:1], 0x18
	s_load_dwordx4 s[4:7], s[0:1], 0x0
	s_load_dwordx2 s[10:11], s[0:1], 0x50
	v_mul_u32_u24_e32 v1, 0x231, v0
	v_add_u32_sdwa v6, s2, v1 dst_sel:DWORD dst_unused:UNUSED_PAD src0_sel:DWORD src1_sel:WORD_1
	s_waitcnt lgkmcnt(0)
	s_load_dwordx2 s[8:9], s[12:13], 0x0
	v_mov_b32_e32 v4, 0
	v_cmp_lt_u64_e64 s[2:3], s[6:7], 2
	v_mov_b32_e32 v7, v4
	s_and_b64 vcc, exec, s[2:3]
	v_mov_b64_e32 v[2:3], 0
	s_cbranch_vccnz .LBB0_8
; %bb.1:
	s_load_dwordx2 s[2:3], s[0:1], 0x10
	s_add_u32 s14, s12, 8
	s_addc_u32 s15, s13, 0
	s_mov_b64 s[16:17], 1
	v_mov_b64_e32 v[2:3], 0
	s_waitcnt lgkmcnt(0)
	s_add_u32 s18, s2, 8
	s_addc_u32 s19, s3, 0
.LBB0_2:                                ; =>This Inner Loop Header: Depth=1
	s_load_dwordx2 s[20:21], s[18:19], 0x0
                                        ; implicit-def: $vgpr8_vgpr9
	s_waitcnt lgkmcnt(0)
	v_or_b32_e32 v5, s21, v7
	v_cmp_ne_u64_e32 vcc, 0, v[4:5]
	s_and_saveexec_b64 s[2:3], vcc
	s_xor_b64 s[22:23], exec, s[2:3]
	s_cbranch_execz .LBB0_4
; %bb.3:                                ;   in Loop: Header=BB0_2 Depth=1
	v_cvt_f32_u32_e32 v1, s20
	v_cvt_f32_u32_e32 v5, s21
	s_sub_u32 s2, 0, s20
	s_subb_u32 s3, 0, s21
	v_fmac_f32_e32 v1, 0x4f800000, v5
	v_rcp_f32_e32 v1, v1
	s_nop 0
	v_mul_f32_e32 v1, 0x5f7ffffc, v1
	v_mul_f32_e32 v5, 0x2f800000, v1
	v_trunc_f32_e32 v5, v5
	v_fmac_f32_e32 v1, 0xcf800000, v5
	v_cvt_u32_f32_e32 v5, v5
	v_cvt_u32_f32_e32 v1, v1
	v_mul_lo_u32 v8, s2, v5
	v_mul_hi_u32 v10, s2, v1
	v_mul_lo_u32 v9, s3, v1
	v_add_u32_e32 v10, v10, v8
	v_mul_lo_u32 v12, s2, v1
	v_add_u32_e32 v13, v10, v9
	v_mul_hi_u32 v8, v1, v12
	v_mul_hi_u32 v11, v1, v13
	v_mul_lo_u32 v10, v1, v13
	v_mov_b32_e32 v9, v4
	v_lshl_add_u64 v[8:9], v[8:9], 0, v[10:11]
	v_mul_hi_u32 v11, v5, v12
	v_mul_lo_u32 v12, v5, v12
	v_add_co_u32_e32 v8, vcc, v8, v12
	v_mul_hi_u32 v10, v5, v13
	s_nop 0
	v_addc_co_u32_e32 v8, vcc, v9, v11, vcc
	v_mov_b32_e32 v9, v4
	s_nop 0
	v_addc_co_u32_e32 v11, vcc, 0, v10, vcc
	v_mul_lo_u32 v10, v5, v13
	v_lshl_add_u64 v[8:9], v[8:9], 0, v[10:11]
	v_add_co_u32_e32 v1, vcc, v1, v8
	v_mul_lo_u32 v10, s2, v1
	s_nop 0
	v_addc_co_u32_e32 v5, vcc, v5, v9, vcc
	v_mul_lo_u32 v8, s2, v5
	v_mul_hi_u32 v9, s2, v1
	v_add_u32_e32 v8, v9, v8
	v_mul_lo_u32 v9, s3, v1
	v_add_u32_e32 v12, v8, v9
	v_mul_hi_u32 v14, v5, v10
	v_mul_lo_u32 v15, v5, v10
	v_mul_hi_u32 v9, v1, v12
	v_mul_lo_u32 v8, v1, v12
	v_mul_hi_u32 v10, v1, v10
	v_mov_b32_e32 v11, v4
	v_lshl_add_u64 v[8:9], v[10:11], 0, v[8:9]
	v_add_co_u32_e32 v8, vcc, v8, v15
	v_mul_hi_u32 v13, v5, v12
	s_nop 0
	v_addc_co_u32_e32 v8, vcc, v9, v14, vcc
	v_mul_lo_u32 v10, v5, v12
	s_nop 0
	v_addc_co_u32_e32 v11, vcc, 0, v13, vcc
	v_mov_b32_e32 v9, v4
	v_lshl_add_u64 v[8:9], v[8:9], 0, v[10:11]
	v_add_co_u32_e32 v1, vcc, v1, v8
	v_mul_hi_u32 v10, v6, v1
	s_nop 0
	v_addc_co_u32_e32 v5, vcc, v5, v9, vcc
	v_mad_u64_u32 v[8:9], s[2:3], v6, v5, 0
	v_mov_b32_e32 v11, v4
	v_lshl_add_u64 v[8:9], v[10:11], 0, v[8:9]
	v_mad_u64_u32 v[12:13], s[2:3], v7, v1, 0
	v_add_co_u32_e32 v1, vcc, v8, v12
	v_mad_u64_u32 v[10:11], s[2:3], v7, v5, 0
	s_nop 0
	v_addc_co_u32_e32 v8, vcc, v9, v13, vcc
	v_mov_b32_e32 v9, v4
	s_nop 0
	v_addc_co_u32_e32 v11, vcc, 0, v11, vcc
	v_lshl_add_u64 v[8:9], v[8:9], 0, v[10:11]
	v_mul_lo_u32 v1, s21, v8
	v_mul_lo_u32 v5, s20, v9
	v_mad_u64_u32 v[10:11], s[2:3], s20, v8, 0
	v_add3_u32 v1, v11, v5, v1
	v_sub_u32_e32 v5, v7, v1
	v_mov_b32_e32 v11, s21
	v_sub_co_u32_e32 v14, vcc, v6, v10
	v_lshl_add_u64 v[12:13], v[8:9], 0, 1
	s_nop 0
	v_subb_co_u32_e64 v5, s[2:3], v5, v11, vcc
	v_subrev_co_u32_e64 v10, s[2:3], s20, v14
	v_subb_co_u32_e32 v1, vcc, v7, v1, vcc
	s_nop 0
	v_subbrev_co_u32_e64 v5, s[2:3], 0, v5, s[2:3]
	v_cmp_le_u32_e64 s[2:3], s21, v5
	v_cmp_le_u32_e32 vcc, s21, v1
	s_nop 0
	v_cndmask_b32_e64 v11, 0, -1, s[2:3]
	v_cmp_le_u32_e64 s[2:3], s20, v10
	s_nop 1
	v_cndmask_b32_e64 v10, 0, -1, s[2:3]
	v_cmp_eq_u32_e64 s[2:3], s21, v5
	s_nop 1
	v_cndmask_b32_e64 v5, v11, v10, s[2:3]
	v_lshl_add_u64 v[10:11], v[8:9], 0, 2
	v_cmp_ne_u32_e64 s[2:3], 0, v5
	s_nop 1
	v_cndmask_b32_e64 v5, v13, v11, s[2:3]
	v_cndmask_b32_e64 v11, 0, -1, vcc
	v_cmp_le_u32_e32 vcc, s20, v14
	s_nop 1
	v_cndmask_b32_e64 v13, 0, -1, vcc
	v_cmp_eq_u32_e32 vcc, s21, v1
	s_nop 1
	v_cndmask_b32_e32 v1, v11, v13, vcc
	v_cmp_ne_u32_e32 vcc, 0, v1
	v_cndmask_b32_e64 v1, v12, v10, s[2:3]
	s_nop 0
	v_cndmask_b32_e32 v9, v9, v5, vcc
	v_cndmask_b32_e32 v8, v8, v1, vcc
.LBB0_4:                                ;   in Loop: Header=BB0_2 Depth=1
	s_andn2_saveexec_b64 s[2:3], s[22:23]
	s_cbranch_execz .LBB0_6
; %bb.5:                                ;   in Loop: Header=BB0_2 Depth=1
	v_cvt_f32_u32_e32 v1, s20
	s_sub_i32 s22, 0, s20
	v_rcp_iflag_f32_e32 v1, v1
	s_nop 0
	v_mul_f32_e32 v1, 0x4f7ffffe, v1
	v_cvt_u32_f32_e32 v1, v1
	v_mul_lo_u32 v5, s22, v1
	v_mul_hi_u32 v5, v1, v5
	v_add_u32_e32 v1, v1, v5
	v_mul_hi_u32 v1, v6, v1
	v_mul_lo_u32 v5, v1, s20
	v_sub_u32_e32 v5, v6, v5
	v_add_u32_e32 v8, 1, v1
	v_subrev_u32_e32 v9, s20, v5
	v_cmp_le_u32_e32 vcc, s20, v5
	s_nop 1
	v_cndmask_b32_e32 v5, v5, v9, vcc
	v_cndmask_b32_e32 v1, v1, v8, vcc
	v_add_u32_e32 v8, 1, v1
	v_cmp_le_u32_e32 vcc, s20, v5
	v_mov_b32_e32 v9, v4
	s_nop 0
	v_cndmask_b32_e32 v8, v1, v8, vcc
.LBB0_6:                                ;   in Loop: Header=BB0_2 Depth=1
	s_or_b64 exec, exec, s[2:3]
	v_mad_u64_u32 v[10:11], s[2:3], v8, s20, 0
	s_load_dwordx2 s[2:3], s[14:15], 0x0
	v_mul_lo_u32 v1, v9, s20
	v_mul_lo_u32 v5, v8, s21
	v_add3_u32 v1, v11, v5, v1
	v_sub_co_u32_e32 v5, vcc, v6, v10
	s_add_u32 s16, s16, 1
	s_nop 0
	v_subb_co_u32_e32 v1, vcc, v7, v1, vcc
	s_addc_u32 s17, s17, 0
	s_waitcnt lgkmcnt(0)
	v_mul_lo_u32 v1, s2, v1
	v_mul_lo_u32 v6, s3, v5
	v_mad_u64_u32 v[2:3], s[2:3], s2, v5, v[2:3]
	s_add_u32 s14, s14, 8
	v_add3_u32 v3, v6, v3, v1
	s_addc_u32 s15, s15, 0
	v_mov_b64_e32 v[6:7], s[6:7]
	s_add_u32 s18, s18, 8
	v_cmp_ge_u64_e32 vcc, s[16:17], v[6:7]
	s_addc_u32 s19, s19, 0
	s_cbranch_vccnz .LBB0_9
; %bb.7:                                ;   in Loop: Header=BB0_2 Depth=1
	v_mov_b64_e32 v[6:7], v[8:9]
	s_branch .LBB0_2
.LBB0_8:
	v_mov_b64_e32 v[8:9], v[6:7]
.LBB0_9:
	s_lshl_b64 s[2:3], s[6:7], 3
	s_add_u32 s2, s12, s2
	s_addc_u32 s3, s13, s3
	s_load_dwordx2 s[6:7], s[2:3], 0x0
	s_load_dwordx2 s[12:13], s[0:1], 0x20
                                        ; implicit-def: $vgpr34_vgpr35
                                        ; implicit-def: $vgpr30_vgpr31
                                        ; implicit-def: $vgpr26_vgpr27
                                        ; implicit-def: $vgpr14_vgpr15
                                        ; implicit-def: $vgpr18_vgpr19
                                        ; implicit-def: $vgpr10_vgpr11
                                        ; implicit-def: $vgpr22_vgpr23
                                        ; implicit-def: $vgpr6_vgpr7
	s_waitcnt lgkmcnt(0)
	v_mad_u64_u32 v[2:3], s[0:1], s6, v8, v[2:3]
	v_mul_lo_u32 v1, s6, v9
	v_mul_lo_u32 v4, s7, v8
	s_mov_b32 s0, 0x2302303
	v_add3_u32 v3, v4, v3, v1
	v_mul_hi_u32 v1, v0, s0
	v_mul_u32_u24_e32 v1, 0x75, v1
	v_sub_u32_e32 v138, v0, v1
	s_movk_i32 s0, 0x5b
	v_cmp_gt_u64_e32 vcc, s[12:13], v[8:9]
	v_cmp_gt_u32_e64 s[0:1], s0, v138
	s_and_b64 s[6:7], vcc, s[0:1]
	v_lshl_add_u64 v[68:69], v[2:3], 4, s[10:11]
                                        ; implicit-def: $vgpr2_vgpr3
	s_and_saveexec_b64 s[2:3], s[6:7]
	s_cbranch_execz .LBB0_11
; %bb.10:
	v_mad_u64_u32 v[0:1], s[6:7], s8, v138, 0
	v_mov_b32_e32 v2, v1
	v_mad_u64_u32 v[2:3], s[6:7], s9, v138, v[2:3]
	v_mov_b32_e32 v1, v2
	v_add_u32_e32 v3, 0x5b, v138
	v_lshl_add_u64 v[8:9], v[0:1], 4, v[68:69]
	v_mad_u64_u32 v[0:1], s[6:7], s8, v3, 0
	v_mov_b32_e32 v2, v1
	v_mad_u64_u32 v[2:3], s[6:7], s9, v3, v[2:3]
	v_mov_b32_e32 v1, v2
	v_lshl_add_u64 v[10:11], v[0:1], 4, v[68:69]
	global_load_dwordx4 v[0:3], v[8:9], off
	global_load_dwordx4 v[4:7], v[10:11], off
	v_add_u32_e32 v11, 0xb6, v138
	v_mad_u64_u32 v[8:9], s[6:7], s8, v11, 0
	v_mov_b32_e32 v10, v9
	v_mad_u64_u32 v[10:11], s[6:7], s9, v11, v[10:11]
	v_mov_b32_e32 v9, v10
	v_add_u32_e32 v11, 0x111, v138
	v_lshl_add_u64 v[12:13], v[8:9], 4, v[68:69]
	v_mad_u64_u32 v[8:9], s[6:7], s8, v11, 0
	v_mov_b32_e32 v10, v9
	v_mad_u64_u32 v[10:11], s[6:7], s9, v11, v[10:11]
	v_mov_b32_e32 v9, v10
	v_lshl_add_u64 v[14:15], v[8:9], 4, v[68:69]
	global_load_dwordx4 v[20:23], v[12:13], off
	global_load_dwordx4 v[8:11], v[14:15], off
	v_add_u32_e32 v15, 0x16c, v138
	;; [unrolled: 14-line block ×4, first 2 shown]
	v_mad_u64_u32 v[32:33], s[6:7], s8, v35, 0
	v_mov_b32_e32 v34, v33
	v_mad_u64_u32 v[34:35], s[6:7], s9, v35, v[34:35]
	v_mov_b32_e32 v33, v34
	v_lshl_add_u64 v[32:33], v[32:33], 4, v[68:69]
	global_load_dwordx4 v[32:35], v[32:33], off
.LBB0_11:
	s_or_b64 exec, exec, s[2:3]
	s_mov_b32 s18, 0xa2cf5039
	s_waitcnt vmcnt(0)
	v_add_f64 v[42:43], v[32:33], v[4:5]
	v_add_f64 v[46:47], v[34:35], v[6:7]
	v_add_f64 v[40:41], v[4:5], -v[32:33]
	v_add_f64 v[32:33], v[6:7], -v[34:35]
	s_mov_b32 s11, 0x3fe491b7
	s_mov_b32 s10, 0x523c161c
	;; [unrolled: 1-line block ×5, first 2 shown]
	v_add_f64 v[44:45], v[28:29], v[20:21]
	v_add_f64 v[48:49], v[30:31], v[22:23]
	;; [unrolled: 1-line block ×4, first 2 shown]
	v_add_f64 v[34:35], v[20:21], -v[28:29]
	v_add_f64 v[28:29], v[22:23], -v[30:31]
	;; [unrolled: 1-line block ×4, first 2 shown]
	s_mov_b32 s2, 0xe8584cab
	v_mul_f64 v[6:7], v[40:41], s[10:11]
	v_mul_f64 v[4:5], v[32:33], s[10:11]
	s_mov_b32 s13, 0x3fef838b
	v_fma_f64 v[8:9], s[18:19], v[42:43], v[0:1]
	v_fma_f64 v[10:11], s[18:19], v[46:47], v[2:3]
	s_mov_b32 s21, 0x3fc63a1a
	s_mov_b32 s3, 0x3febb67a
	v_fmac_f64_e32 v[6:7], s[12:13], v[34:35]
	v_fmac_f64_e32 v[4:5], s[12:13], v[28:29]
	s_mov_b32 s14, 0x748a0bf8
	v_fmac_f64_e32 v[8:9], s[20:21], v[44:45]
	v_fmac_f64_e32 v[10:11], s[20:21], v[48:49]
	;; [unrolled: 3-line block ×3, first 2 shown]
	v_add_f64 v[50:51], v[16:17], -v[12:13]
	v_add_f64 v[30:31], v[18:19], -v[14:15]
	s_mov_b32 s15, 0x3fd5e3a8
	v_fmac_f64_e32 v[8:9], -0.5, v[36:37]
	v_fmac_f64_e32 v[10:11], -0.5, v[38:39]
	v_add_f64 v[52:53], v[12:13], v[16:17]
	v_add_f64 v[56:57], v[14:15], v[18:19]
	s_mov_b32 s23, 0xbfee11f6
	v_fmac_f64_e32 v[6:7], s[14:15], v[50:51]
	v_fmac_f64_e32 v[4:5], s[14:15], v[30:31]
	;; [unrolled: 1-line block ×4, first 2 shown]
	v_add_f64 v[20:21], v[8:9], -v[4:5]
	v_add_f64 v[22:23], v[6:7], v[10:11]
	v_mul_f64 v[8:9], v[50:51], s[10:11]
	v_mul_f64 v[10:11], v[30:31], s[10:11]
	v_fma_f64 v[60:61], v[40:41], s[12:13], -v[8:9]
	v_fma_f64 v[8:9], v[32:33], s[12:13], -v[10:11]
	v_fma_f64 v[10:11], s[18:19], v[52:53], v[0:1]
	v_fma_f64 v[26:27], s[18:19], v[56:57], v[2:3]
	s_mov_b32 s17, 0xbfebb67a
	s_mov_b32 s16, s2
	v_fmac_f64_e32 v[10:11], s[20:21], v[42:43]
	v_fmac_f64_e32 v[26:27], s[20:21], v[46:47]
	;; [unrolled: 1-line block ×4, first 2 shown]
	v_fmac_f64_e32 v[10:11], -0.5, v[36:37]
	v_fmac_f64_e32 v[26:27], -0.5, v[38:39]
	v_fmac_f64_e32 v[60:61], s[14:15], v[34:35]
	v_fmac_f64_e32 v[8:9], s[14:15], v[28:29]
	;; [unrolled: 1-line block ×4, first 2 shown]
	v_add_f64 v[24:25], v[10:11], -v[8:9]
	v_add_f64 v[26:27], v[60:61], v[26:27]
	v_fma_f64 v[4:5], 2.0, v[4:5], v[20:21]
	v_fma_f64 v[6:7], -2.0, v[6:7], v[22:23]
	v_fma_f64 v[8:9], 2.0, v[8:9], v[24:25]
	v_fma_f64 v[10:11], -2.0, v[60:61], v[26:27]
	s_and_saveexec_b64 s[6:7], s[0:1]
	s_cbranch_execz .LBB0_13
; %bb.12:
	v_mul_f64 v[62:63], v[50:51], s[12:13]
	s_mov_b32 s11, 0xbfe491b7
	v_mul_f64 v[58:59], v[58:59], s[2:3]
	v_fma_f64 v[62:63], v[34:35], s[10:11], -v[62:63]
	v_add_f64 v[58:59], v[58:59], v[62:63]
	v_fma_f64 v[62:63], s[18:19], v[48:49], v[2:3]
	v_mul_f64 v[60:61], v[38:39], 0.5
	v_fmac_f64_e32 v[62:63], s[20:21], v[56:57]
	v_add_f64 v[60:61], v[62:63], -v[60:61]
	v_fmac_f64_e32 v[58:59], s[14:15], v[40:41]
	v_fmac_f64_e32 v[60:61], s[22:23], v[46:47]
	v_add_f64 v[60:61], v[58:59], v[60:61]
	v_mov_b64_e32 v[64:65], v[60:61]
	v_fmac_f64_e32 v[64:65], -2.0, v[58:59]
	v_mul_f64 v[58:59], v[30:31], s[12:13]
	v_mul_f64 v[54:55], v[54:55], s[2:3]
	v_fma_f64 v[58:59], v[28:29], s[10:11], -v[58:59]
	v_add_f64 v[54:55], v[54:55], v[58:59]
	v_fma_f64 v[58:59], s[18:19], v[44:45], v[0:1]
	v_fmac_f64_e32 v[58:59], s[20:21], v[52:53]
	v_mul_f64 v[62:63], v[36:37], 0.5
	v_add_f64 v[46:47], v[48:49], v[46:47]
	v_add_f64 v[58:59], v[58:59], -v[62:63]
	v_add_f64 v[48:49], v[38:39], v[46:47]
	v_fmac_f64_e32 v[58:59], s[22:23], v[42:43]
	v_add_f64 v[18:19], v[18:19], v[48:49]
	v_add_f64 v[42:43], v[44:45], v[42:43]
	;; [unrolled: 1-line block ×10, first 2 shown]
	v_add_f64 v[16:17], v[16:17], -v[34:35]
	v_fmac_f64_e32 v[2:3], -0.5, v[18:19]
	v_add_f64 v[12:13], v[0:1], v[12:13]
	v_mul_f64 v[34:35], v[16:17], s[2:3]
	v_fmac_f64_e32 v[2:3], s[2:3], v[16:17]
	v_add_f64 v[16:17], v[30:31], v[32:33]
	v_add_f64 v[0:1], v[36:37], v[0:1]
	;; [unrolled: 1-line block ×3, first 2 shown]
	v_add_f64 v[16:17], v[16:17], -v[28:29]
	v_fmac_f64_e32 v[0:1], -0.5, v[30:31]
	v_fmac_f64_e32 v[54:55], s[14:15], v[32:33]
	v_fmac_f64_e32 v[0:1], s[16:17], v[16:17]
	v_add_f64 v[58:59], v[58:59], -v[54:55]
	v_mul_f64 v[28:29], v[16:17], s[2:3]
	v_mov_b64_e32 v[16:17], v[0:1]
	s_movk_i32 s0, 0x90
	v_mov_b64_e32 v[62:63], v[58:59]
	v_mov_b64_e32 v[18:19], v[2:3]
	v_fmac_f64_e32 v[16:17], 2.0, v[28:29]
	v_mad_u32_u24 v28, v138, s0, 0
	v_fmac_f64_e32 v[62:63], 2.0, v[54:55]
	v_fmac_f64_e32 v[18:19], -2.0, v[34:35]
	ds_write_b128 v28, v[12:15]
	ds_write_b128 v28, v[20:23] offset:16
	ds_write_b128 v28, v[24:27] offset:32
	ds_write_b128 v28, v[0:3] offset:48
	ds_write_b128 v28, v[58:61] offset:64
	ds_write_b128 v28, v[62:65] offset:80
	ds_write_b128 v28, v[16:19] offset:96
	ds_write_b128 v28, v[8:11] offset:112
	ds_write_b128 v28, v[4:7] offset:128
.LBB0_13:
	s_or_b64 exec, exec, s[6:7]
	v_mov_b32_e32 v0, 57
	v_mul_lo_u16_sdwa v0, v138, v0 dst_sel:DWORD dst_unused:UNUSED_PAD src0_sel:BYTE_0 src1_sel:DWORD
	v_lshrrev_b16_e32 v49, 9, v0
	v_mul_lo_u16_e32 v0, 9, v49
	v_sub_u16_e32 v76, v138, v0
	v_mov_b32_e32 v0, 6
	v_mul_u32_u24_sdwa v0, v76, v0 dst_sel:DWORD dst_unused:UNUSED_PAD src0_sel:BYTE_0 src1_sel:DWORD
	v_lshlrev_b32_e32 v32, 4, v0
	s_waitcnt lgkmcnt(0)
	s_barrier
	global_load_dwordx4 v[0:3], v32, s[4:5]
	global_load_dwordx4 v[12:15], v32, s[4:5] offset:16
	global_load_dwordx4 v[16:19], v32, s[4:5] offset:32
	;; [unrolled: 1-line block ×5, first 2 shown]
	v_lshl_add_u32 v48, v138, 4, 0
	ds_read_b128 v[32:35], v48
	ds_read_b128 v[36:39], v48 offset:1872
	ds_read_b128 v[40:43], v48 offset:3744
	;; [unrolled: 1-line block ×6, first 2 shown]
	s_mov_b32 s6, 0xe976ee23
	s_mov_b32 s7, 0x3fe11646
	;; [unrolled: 1-line block ×6, first 2 shown]
	s_waitcnt lgkmcnt(0)
	s_barrier
	s_waitcnt vmcnt(5)
	v_mul_f64 v[62:63], v[38:39], v[2:3]
	v_mul_f64 v[2:3], v[36:37], v[2:3]
	s_waitcnt vmcnt(4)
	v_mul_f64 v[64:65], v[42:43], v[14:15]
	v_mul_f64 v[14:15], v[40:41], v[14:15]
	s_waitcnt vmcnt(3)
	v_mul_f64 v[66:67], v[46:47], v[18:19]
	v_mul_f64 v[18:19], v[44:45], v[18:19]
	s_waitcnt vmcnt(1)
	v_mul_f64 v[72:73], v[56:57], v[26:27]
	v_mul_f64 v[26:27], v[54:55], v[26:27]
	s_waitcnt vmcnt(0)
	v_mul_f64 v[74:75], v[60:61], v[30:31]
	v_mul_f64 v[30:31], v[58:59], v[30:31]
	v_mul_f64 v[70:71], v[52:53], v[22:23]
	v_mul_f64 v[22:23], v[50:51], v[22:23]
	v_fmac_f64_e32 v[62:63], v[36:37], v[0:1]
	v_fma_f64 v[0:1], v[38:39], v[0:1], -v[2:3]
	v_fmac_f64_e32 v[64:65], v[40:41], v[12:13]
	v_fma_f64 v[2:3], v[42:43], v[12:13], -v[14:15]
	;; [unrolled: 2-line block ×6, first 2 shown]
	v_add_f64 v[20:21], v[62:63], v[74:75]
	v_add_f64 v[22:23], v[0:1], v[18:19]
	v_add_f64 v[0:1], v[0:1], -v[18:19]
	v_add_f64 v[18:19], v[64:65], v[72:73]
	v_add_f64 v[26:27], v[2:3], v[16:17]
	v_add_f64 v[28:29], v[64:65], -v[72:73]
	v_add_f64 v[2:3], v[2:3], -v[16:17]
	v_add_f64 v[16:17], v[66:67], v[70:71]
	v_add_f64 v[30:31], v[12:13], v[14:15]
	v_add_f64 v[36:37], v[70:71], -v[66:67]
	;; [unrolled: 4-line block ×3, first 2 shown]
	v_add_f64 v[20:21], v[20:21], -v[16:17]
	v_add_f64 v[18:19], v[16:17], -v[18:19]
	v_add_f64 v[46:47], v[12:13], v[2:3]
	v_add_f64 v[50:51], v[36:37], -v[28:29]
	v_add_f64 v[52:53], v[12:13], -v[2:3]
	v_add_f64 v[14:15], v[16:17], v[14:15]
	v_add_f64 v[16:17], v[30:31], v[38:39]
	v_add_f64 v[42:43], v[26:27], -v[22:23]
	v_add_f64 v[22:23], v[22:23], -v[30:31]
	;; [unrolled: 1-line block ×5, first 2 shown]
	v_add_f64 v[30:31], v[46:47], v[0:1]
	v_add_f64 v[0:1], v[32:33], v[14:15]
	;; [unrolled: 1-line block ×3, first 2 shown]
	v_mul_f64 v[32:33], v[50:51], s[6:7]
	v_mul_f64 v[34:35], v[52:53], s[6:7]
	s_mov_b32 s6, 0xaaaaaaaa
	v_add_f64 v[24:25], v[62:63], -v[74:75]
	v_add_f64 v[44:45], v[36:37], v[28:29]
	s_mov_b32 s7, 0xbff2aaaa
	v_add_f64 v[36:37], v[24:25], -v[36:37]
	v_add_f64 v[28:29], v[28:29], -v[24:25]
	v_add_f64 v[24:25], v[44:45], v[24:25]
	v_mul_f64 v[38:39], v[18:19], s[0:1]
	v_mul_f64 v[44:45], v[26:27], s[0:1]
	v_fma_f64 v[14:15], s[6:7], v[14:15], v[0:1]
	v_fma_f64 v[16:17], s[6:7], v[16:17], v[2:3]
	s_mov_b32 s7, 0x3fe77f67
	s_mov_b32 s6, 0x5476071b
	v_mul_f64 v[20:21], v[20:21], s[2:3]
	v_mul_f64 v[22:23], v[22:23], s[2:3]
	s_mov_b32 s2, 0x429ad128
	v_fma_f64 v[38:39], v[40:41], s[6:7], -v[38:39]
	v_fma_f64 v[44:45], v[42:43], s[6:7], -v[44:45]
	s_mov_b32 s7, 0xbfe77f67
	s_mov_b32 s3, 0xbfebfeb5
	v_fma_f64 v[18:19], s[0:1], v[18:19], v[20:21]
	v_fma_f64 v[20:21], v[40:41], s[6:7], -v[20:21]
	v_fma_f64 v[40:41], v[42:43], s[6:7], -v[22:23]
	v_fmac_f64_e32 v[22:23], s[0:1], v[26:27]
	s_mov_b32 s1, 0xbfd5d0dc
	s_mov_b32 s0, 0xb247c609
	v_mul_f64 v[46:47], v[28:29], s[2:3]
	v_mul_f64 v[50:51], v[54:55], s[2:3]
	v_fma_f64 v[42:43], s[0:1], v[36:37], v[32:33]
	v_fma_f64 v[26:27], v[28:29], s[2:3], -v[32:33]
	v_fma_f64 v[28:29], v[54:55], s[2:3], -v[34:35]
	v_fmac_f64_e32 v[34:35], s[0:1], v[12:13]
	s_mov_b32 s1, 0x3fd5d0dc
	v_fma_f64 v[32:33], v[36:37], s[0:1], -v[46:47]
	v_fma_f64 v[36:37], v[12:13], s[0:1], -v[50:51]
	s_mov_b32 s0, 0x37c3f68c
	s_mov_b32 s1, 0xbfdc38aa
	v_add_f64 v[38:39], v[38:39], v[14:15]
	v_add_f64 v[52:53], v[20:21], v[14:15]
	v_fmac_f64_e32 v[28:29], s[0:1], v[30:31]
	v_fmac_f64_e32 v[36:37], s[0:1], v[30:31]
	v_add_f64 v[50:51], v[22:23], v[16:17]
	v_add_f64 v[44:45], v[44:45], v[16:17]
	;; [unrolled: 1-line block ×3, first 2 shown]
	v_fmac_f64_e32 v[42:43], s[0:1], v[24:25]
	v_fmac_f64_e32 v[26:27], s[0:1], v[24:25]
	;; [unrolled: 1-line block ×3, first 2 shown]
	v_add_f64 v[16:17], v[36:37], v[52:53]
	v_add_f64 v[20:21], v[38:39], -v[28:29]
	v_add_f64 v[24:25], v[28:29], v[38:39]
	v_add_f64 v[28:29], v[52:53], -v[36:37]
	v_mov_b32_e32 v37, 4
	v_add_f64 v[46:47], v[18:19], v[14:15]
	v_fmac_f64_e32 v[34:35], s[0:1], v[30:31]
	v_mul_u32_u24_e32 v36, 0x3f0, v49
	v_lshlrev_b32_sdwa v37, v37, v76 dst_sel:DWORD dst_unused:UNUSED_PAD src0_sel:DWORD src1_sel:BYTE_0
	v_add_f64 v[12:13], v[34:35], v[46:47]
	v_add_f64 v[14:15], v[50:51], -v[42:43]
	v_add_f64 v[18:19], v[40:41], -v[32:33]
	v_add_f64 v[22:23], v[26:27], v[44:45]
	v_add_f64 v[26:27], v[44:45], -v[26:27]
	v_add_f64 v[30:31], v[32:33], v[40:41]
	;; [unrolled: 2-line block ×3, first 2 shown]
	v_add3_u32 v36, 0, v36, v37
	v_cmp_gt_u32_e64 s[0:1], 63, v138
	ds_write_b128 v36, v[0:3]
	ds_write_b128 v36, v[12:15] offset:144
	ds_write_b128 v36, v[16:19] offset:288
	;; [unrolled: 1-line block ×6, first 2 shown]
	s_waitcnt lgkmcnt(0)
	s_barrier
	s_waitcnt lgkmcnt(0)
                                        ; implicit-def: $vgpr50_vgpr51
                                        ; implicit-def: $vgpr46_vgpr47
                                        ; implicit-def: $vgpr42_vgpr43
                                        ; implicit-def: $vgpr38_vgpr39
	s_and_saveexec_b64 s[2:3], s[0:1]
	s_cbranch_execnz .LBB0_16
; %bb.14:
	s_or_b64 exec, exec, s[2:3]
	s_and_b64 s[0:1], vcc, s[0:1]
	s_and_saveexec_b64 s[2:3], s[0:1]
	s_cbranch_execnz .LBB0_17
.LBB0_15:
	s_endpgm
.LBB0_16:
	ds_read_b128 v[0:3], v48
	ds_read_b128 v[12:15], v48 offset:1008
	ds_read_b128 v[16:19], v48 offset:2016
	;; [unrolled: 1-line block ×12, first 2 shown]
	s_or_b64 exec, exec, s[2:3]
	s_and_b64 s[0:1], vcc, s[0:1]
	s_and_saveexec_b64 s[2:3], s[0:1]
	s_cbranch_execz .LBB0_15
.LBB0_17:
	v_mul_u32_u24_e32 v52, 12, v138
	v_lshlrev_b32_e32 v70, 4, v52
	global_load_dwordx4 v[56:59], v70, s[4:5] offset:944
	global_load_dwordx4 v[52:55], v70, s[4:5] offset:960
	;; [unrolled: 1-line block ×12, first 2 shown]
	s_mov_b32 s12, 0x4bc48dbf
	s_mov_b32 s13, 0xbfcea1e5
	;; [unrolled: 1-line block ×32, first 2 shown]
	s_waitcnt vmcnt(11) lgkmcnt(6)
	v_mul_f64 v[70:71], v[34:35], v[58:59]
	v_mul_f64 v[118:119], v[32:33], v[58:59]
	s_waitcnt vmcnt(10) lgkmcnt(5)
	v_mul_f64 v[58:59], v[10:11], v[54:55]
	v_mul_f64 v[120:121], v[8:9], v[54:55]
	s_waitcnt vmcnt(9)
	v_mul_f64 v[72:73], v[30:31], v[66:67]
	v_mul_f64 v[122:123], v[28:29], v[66:67]
	s_waitcnt vmcnt(8) lgkmcnt(4)
	v_mul_f64 v[54:55], v[6:7], v[62:63]
	s_waitcnt vmcnt(4) lgkmcnt(2)
	v_mul_f64 v[74:75], v[42:43], v[100:101]
	v_mul_f64 v[100:101], v[40:41], v[100:101]
	s_waitcnt vmcnt(3)
	v_mul_f64 v[82:83], v[18:19], v[104:105]
	s_waitcnt vmcnt(1)
	v_mul_f64 v[84:85], v[14:15], v[112:113]
	s_waitcnt vmcnt(0) lgkmcnt(0)
	v_mul_f64 v[80:81], v[50:51], v[116:117]
	v_mul_f64 v[78:79], v[46:47], v[108:109]
	;; [unrolled: 1-line block ×5, first 2 shown]
	v_fmac_f64_e32 v[84:85], v[12:13], v[110:111]
	v_fmac_f64_e32 v[80:81], v[48:49], v[114:115]
	v_mul_f64 v[124:125], v[4:5], v[62:63]
	v_mul_f64 v[66:67], v[26:27], v[88:89]
	v_mul_f64 v[88:89], v[24:25], v[88:89]
	v_mul_f64 v[62:63], v[38:39], v[92:93]
	v_mul_f64 v[92:93], v[36:37], v[92:93]
	v_mul_f64 v[76:77], v[22:23], v[96:97]
	v_mul_f64 v[96:97], v[20:21], v[96:97]
	v_mul_f64 v[104:105], v[16:17], v[104:105]
	v_fmac_f64_e32 v[74:75], v[40:41], v[98:99]
	v_fma_f64 v[40:41], v[42:43], v[98:99], -v[100:101]
	v_fmac_f64_e32 v[82:83], v[16:17], v[102:103]
	v_fmac_f64_e32 v[78:79], v[44:45], v[106:107]
	v_fma_f64 v[42:43], v[46:47], v[106:107], -v[108:109]
	v_fma_f64 v[46:47], v[14:15], v[110:111], -v[112:113]
	;; [unrolled: 1-line block ×3, first 2 shown]
	v_add_f64 v[108:109], v[84:85], -v[80:81]
	v_fmac_f64_e32 v[58:59], v[8:9], v[52:53]
	v_fma_f64 v[52:53], v[10:11], v[52:53], -v[120:121]
	v_fmac_f64_e32 v[66:67], v[24:25], v[86:87]
	v_fma_f64 v[88:89], v[26:27], v[86:87], -v[88:89]
	;; [unrolled: 2-line block ×4, first 2 shown]
	v_fma_f64 v[92:93], v[18:19], v[102:103], -v[104:105]
	v_add_f64 v[110:111], v[82:83], -v[78:79]
	v_add_f64 v[94:95], v[46:47], v[44:45]
	v_mul_f64 v[10:11], v[108:109], s[12:13]
	v_fmac_f64_e32 v[54:55], v[4:5], v[60:61]
	v_fma_f64 v[60:61], v[6:7], v[60:61], -v[124:125]
	v_add_f64 v[104:105], v[76:77], -v[74:75]
	v_add_f64 v[50:51], v[92:93], v[42:43]
	v_mul_f64 v[8:9], v[110:111], s[10:11]
	v_fma_f64 v[6:7], s[6:7], v[94:95], v[10:11]
	v_add_f64 v[48:49], v[90:91], v[40:41]
	v_mul_f64 v[12:13], v[104:105], s[4:5]
	v_fma_f64 v[4:5], s[2:3], v[50:51], v[8:9]
	v_add_f64 v[6:7], v[2:3], v[6:7]
	v_fmac_f64_e32 v[72:73], v[28:29], v[64:65]
	v_fma_f64 v[14:15], s[0:1], v[48:49], v[12:13]
	v_add_f64 v[4:5], v[4:5], v[6:7]
	v_add_f64 v[116:117], v[66:67], -v[62:63]
	v_fmac_f64_e32 v[70:71], v[32:33], v[56:57]
	v_fma_f64 v[56:57], v[34:35], v[56:57], -v[118:119]
	v_fma_f64 v[64:65], v[30:31], v[64:65], -v[122:123]
	v_add_f64 v[4:5], v[14:15], v[4:5]
	v_mul_f64 v[14:15], v[116:117], s[28:29]
	v_add_f64 v[96:97], v[88:89], v[86:87]
	v_add_f64 v[118:119], v[72:73], -v[54:55]
	v_fma_f64 v[6:7], s[14:15], v[96:97], v[14:15]
	v_mul_f64 v[16:17], v[118:119], s[18:19]
	v_add_f64 v[98:99], v[64:65], v[60:61]
	v_add_f64 v[122:123], v[46:47], -v[44:45]
	v_add_f64 v[4:5], v[6:7], v[4:5]
	v_fma_f64 v[6:7], s[16:17], v[98:99], v[16:17]
	v_add_f64 v[100:101], v[84:85], v[80:81]
	v_mul_f64 v[18:19], v[122:123], s[12:13]
	v_add_f64 v[130:131], v[92:93], -v[42:43]
	v_add_f64 v[4:5], v[6:7], v[4:5]
	v_fma_f64 v[6:7], v[100:101], s[6:7], -v[18:19]
	v_add_f64 v[102:103], v[82:83], v[78:79]
	v_mul_f64 v[20:21], v[130:131], s[10:11]
	v_fma_f64 v[10:11], v[94:95], s[6:7], -v[10:11]
	v_add_f64 v[6:7], v[0:1], v[6:7]
	v_fma_f64 v[22:23], v[102:103], s[2:3], -v[20:21]
	v_add_f64 v[124:125], v[90:91], -v[40:41]
	v_fma_f64 v[8:9], v[50:51], s[2:3], -v[8:9]
	v_add_f64 v[10:11], v[2:3], v[10:11]
	v_add_f64 v[6:7], v[22:23], v[6:7]
	;; [unrolled: 1-line block ×3, first 2 shown]
	v_mul_f64 v[22:23], v[124:125], s[4:5]
	v_add_f64 v[8:9], v[8:9], v[10:11]
	v_fma_f64 v[10:11], v[48:49], s[0:1], -v[12:13]
	v_fma_f64 v[24:25], v[106:107], s[0:1], -v[22:23]
	v_add_f64 v[128:129], v[88:89], -v[86:87]
	v_add_f64 v[8:9], v[10:11], v[8:9]
	v_fma_f64 v[10:11], v[96:97], s[14:15], -v[14:15]
	v_add_f64 v[6:7], v[24:25], v[6:7]
	v_add_f64 v[112:113], v[66:67], v[62:63]
	v_mul_f64 v[24:25], v[128:129], s[28:29]
	v_add_f64 v[8:9], v[10:11], v[8:9]
	v_fma_f64 v[10:11], v[98:99], s[16:17], -v[16:17]
	v_fmac_f64_e32 v[18:19], s[6:7], v[100:101]
	v_fma_f64 v[26:27], v[112:113], s[14:15], -v[24:25]
	v_add_f64 v[132:133], v[64:65], -v[60:61]
	v_add_f64 v[8:9], v[10:11], v[8:9]
	v_fmac_f64_e32 v[20:21], s[2:3], v[102:103]
	v_add_f64 v[10:11], v[0:1], v[18:19]
	v_add_f64 v[6:7], v[26:27], v[6:7]
	;; [unrolled: 1-line block ×3, first 2 shown]
	v_mul_f64 v[26:27], v[132:133], s[18:19]
	v_add_f64 v[134:135], v[70:71], -v[58:59]
	v_add_f64 v[10:11], v[20:21], v[10:11]
	v_fmac_f64_e32 v[22:23], s[0:1], v[106:107]
	v_fma_f64 v[28:29], v[114:115], s[16:17], -v[26:27]
	v_mul_f64 v[30:31], v[134:135], s[24:25]
	v_add_f64 v[126:127], v[56:57], v[52:53]
	v_add_f64 v[136:137], v[56:57], -v[52:53]
	v_add_f64 v[10:11], v[22:23], v[10:11]
	v_fmac_f64_e32 v[24:25], s[14:15], v[112:113]
	v_add_f64 v[28:29], v[28:29], v[6:7]
	v_fma_f64 v[6:7], s[20:21], v[126:127], v[30:31]
	v_add_f64 v[120:121], v[70:71], v[58:59]
	v_mul_f64 v[32:33], v[136:137], s[24:25]
	v_add_f64 v[10:11], v[24:25], v[10:11]
	v_fmac_f64_e32 v[26:27], s[16:17], v[114:115]
	v_add_f64 v[6:7], v[6:7], v[4:5]
	v_fma_f64 v[4:5], v[120:121], s[20:21], -v[32:33]
	v_add_f64 v[12:13], v[26:27], v[10:11]
	v_fma_f64 v[10:11], v[126:127], s[20:21], -v[30:31]
	v_fmac_f64_e32 v[32:33], s[20:21], v[120:121]
	v_mul_f64 v[16:17], v[108:109], s[4:5]
	v_add_f64 v[10:11], v[10:11], v[8:9]
	v_add_f64 v[8:9], v[32:33], v[12:13]
	v_fma_f64 v[12:13], s[0:1], v[94:95], v[16:17]
	v_mul_f64 v[18:19], v[110:111], s[24:25]
	v_add_f64 v[12:13], v[2:3], v[12:13]
	v_fma_f64 v[14:15], s[20:21], v[50:51], v[18:19]
	v_mul_f64 v[20:21], v[104:105], s[22:23]
	;; [unrolled: 3-line block ×5, first 2 shown]
	v_add_f64 v[4:5], v[4:5], v[28:29]
	v_add_f64 v[12:13], v[14:15], v[12:13]
	v_fma_f64 v[14:15], v[100:101], s[0:1], -v[26:27]
	v_mul_f64 v[28:29], v[130:131], s[24:25]
	v_fma_f64 v[16:17], v[94:95], s[0:1], -v[16:17]
	v_add_f64 v[14:15], v[0:1], v[14:15]
	v_fma_f64 v[30:31], v[102:103], s[20:21], -v[28:29]
	v_fma_f64 v[18:19], v[50:51], s[20:21], -v[18:19]
	v_add_f64 v[16:17], v[2:3], v[16:17]
	v_add_f64 v[14:15], v[30:31], v[14:15]
	v_mul_f64 v[30:31], v[124:125], s[22:23]
	v_add_f64 v[16:17], v[18:19], v[16:17]
	v_fma_f64 v[18:19], v[48:49], s[14:15], -v[20:21]
	v_fma_f64 v[32:33], v[106:107], s[14:15], -v[30:31]
	v_add_f64 v[16:17], v[18:19], v[16:17]
	v_fma_f64 v[18:19], v[96:97], s[6:7], -v[22:23]
	v_add_f64 v[14:15], v[32:33], v[14:15]
	v_mul_f64 v[32:33], v[128:129], s[34:35]
	v_add_f64 v[16:17], v[18:19], v[16:17]
	v_fma_f64 v[18:19], v[98:99], s[2:3], -v[24:25]
	v_fmac_f64_e32 v[26:27], s[0:1], v[100:101]
	v_fma_f64 v[34:35], v[112:113], s[6:7], -v[32:33]
	v_add_f64 v[16:17], v[18:19], v[16:17]
	v_fmac_f64_e32 v[28:29], s[20:21], v[102:103]
	v_add_f64 v[18:19], v[0:1], v[26:27]
	v_add_f64 v[14:15], v[34:35], v[14:15]
	v_mul_f64 v[34:35], v[132:133], s[10:11]
	v_add_f64 v[18:19], v[28:29], v[18:19]
	v_fmac_f64_e32 v[30:31], s[14:15], v[106:107]
	v_fma_f64 v[36:37], v[114:115], s[2:3], -v[34:35]
	v_mul_f64 v[38:39], v[134:135], s[18:19]
	v_add_f64 v[18:19], v[30:31], v[18:19]
	v_fmac_f64_e32 v[32:33], s[6:7], v[112:113]
	v_add_f64 v[36:37], v[36:37], v[14:15]
	v_fma_f64 v[14:15], s[16:17], v[126:127], v[38:39]
	v_mul_f64 v[140:141], v[136:137], s[18:19]
	v_add_f64 v[18:19], v[32:33], v[18:19]
	v_fmac_f64_e32 v[34:35], s[2:3], v[114:115]
	v_add_f64 v[14:15], v[14:15], v[12:13]
	v_fma_f64 v[12:13], v[120:121], s[16:17], -v[140:141]
	v_add_f64 v[20:21], v[34:35], v[18:19]
	v_fma_f64 v[18:19], v[126:127], s[16:17], -v[38:39]
	v_fmac_f64_e32 v[140:141], s[16:17], v[120:121]
	v_mul_f64 v[24:25], v[108:109], s[18:19]
	v_add_f64 v[18:19], v[18:19], v[16:17]
	v_add_f64 v[16:17], v[140:141], v[20:21]
	v_fma_f64 v[20:21], s[16:17], v[94:95], v[24:25]
	v_mul_f64 v[26:27], v[110:111], s[30:31]
	v_add_f64 v[20:21], v[2:3], v[20:21]
	v_fma_f64 v[22:23], s[0:1], v[50:51], v[26:27]
	v_mul_f64 v[28:29], v[104:105], s[10:11]
	;; [unrolled: 3-line block ×5, first 2 shown]
	v_add_f64 v[12:13], v[12:13], v[36:37]
	v_add_f64 v[20:21], v[22:23], v[20:21]
	v_fma_f64 v[22:23], v[100:101], s[16:17], -v[34:35]
	v_mul_f64 v[36:37], v[130:131], s[30:31]
	v_fma_f64 v[24:25], v[94:95], s[16:17], -v[24:25]
	v_add_f64 v[22:23], v[0:1], v[22:23]
	v_fma_f64 v[38:39], v[102:103], s[0:1], -v[36:37]
	v_fma_f64 v[26:27], v[50:51], s[0:1], -v[26:27]
	v_add_f64 v[24:25], v[2:3], v[24:25]
	v_add_f64 v[22:23], v[38:39], v[22:23]
	v_mul_f64 v[38:39], v[124:125], s[10:11]
	v_add_f64 v[24:25], v[26:27], v[24:25]
	v_fma_f64 v[26:27], v[48:49], s[2:3], -v[28:29]
	v_fma_f64 v[140:141], v[106:107], s[2:3], -v[38:39]
	v_add_f64 v[24:25], v[26:27], v[24:25]
	v_fma_f64 v[26:27], v[96:97], s[20:21], -v[30:31]
	v_add_f64 v[22:23], v[140:141], v[22:23]
	v_mul_f64 v[140:141], v[128:129], s[26:27]
	v_add_f64 v[24:25], v[26:27], v[24:25]
	v_fma_f64 v[26:27], v[98:99], s[6:7], -v[32:33]
	v_fmac_f64_e32 v[34:35], s[16:17], v[100:101]
	v_fma_f64 v[142:143], v[112:113], s[20:21], -v[140:141]
	v_add_f64 v[24:25], v[26:27], v[24:25]
	v_fmac_f64_e32 v[36:37], s[0:1], v[102:103]
	v_add_f64 v[26:27], v[0:1], v[34:35]
	v_add_f64 v[22:23], v[142:143], v[22:23]
	v_mul_f64 v[142:143], v[132:133], s[34:35]
	v_add_f64 v[26:27], v[36:37], v[26:27]
	v_fmac_f64_e32 v[38:39], s[2:3], v[106:107]
	v_fma_f64 v[144:145], v[114:115], s[6:7], -v[142:143]
	v_mul_f64 v[146:147], v[134:135], s[28:29]
	v_add_f64 v[26:27], v[38:39], v[26:27]
	v_fmac_f64_e32 v[140:141], s[20:21], v[112:113]
	v_add_f64 v[144:145], v[144:145], v[22:23]
	v_fma_f64 v[22:23], s[14:15], v[126:127], v[146:147]
	v_mul_f64 v[148:149], v[136:137], s[28:29]
	v_add_f64 v[26:27], v[140:141], v[26:27]
	v_fmac_f64_e32 v[142:143], s[6:7], v[114:115]
	v_fma_f64 v[28:29], v[126:127], s[14:15], -v[146:147]
	v_mul_f64 v[32:33], v[108:109], s[26:27]
	v_add_f64 v[22:23], v[22:23], v[20:21]
	v_fma_f64 v[20:21], v[120:121], s[14:15], -v[148:149]
	v_add_f64 v[26:27], v[142:143], v[26:27]
	v_add_f64 v[30:31], v[28:29], v[24:25]
	v_fmac_f64_e32 v[148:149], s[14:15], v[120:121]
	v_fma_f64 v[24:25], s[20:21], v[94:95], v[32:33]
	v_mul_f64 v[34:35], v[110:111], s[12:13]
	s_mov_b32 s29, 0x3fedeba7
	s_mov_b32 s28, s18
	v_add_f64 v[28:29], v[148:149], v[26:27]
	v_add_f64 v[24:25], v[2:3], v[24:25]
	v_fma_f64 v[26:27], s[6:7], v[50:51], v[34:35]
	v_mul_f64 v[36:37], v[104:105], s[28:29]
	v_add_f64 v[24:25], v[26:27], v[24:25]
	v_fma_f64 v[26:27], s[16:17], v[48:49], v[36:37]
	v_mul_f64 v[38:39], v[116:117], s[10:11]
	;; [unrolled: 3-line block ×4, first 2 shown]
	v_add_f64 v[20:21], v[20:21], v[144:145]
	v_add_f64 v[24:25], v[26:27], v[24:25]
	v_fma_f64 v[26:27], v[100:101], s[20:21], -v[142:143]
	v_mul_f64 v[144:145], v[130:131], s[12:13]
	v_fma_f64 v[32:33], v[94:95], s[20:21], -v[32:33]
	v_add_f64 v[26:27], v[0:1], v[26:27]
	v_fma_f64 v[146:147], v[102:103], s[6:7], -v[144:145]
	v_fma_f64 v[34:35], v[50:51], s[6:7], -v[34:35]
	v_add_f64 v[32:33], v[2:3], v[32:33]
	v_add_f64 v[26:27], v[146:147], v[26:27]
	v_mul_f64 v[146:147], v[124:125], s[28:29]
	v_add_f64 v[32:33], v[34:35], v[32:33]
	v_fma_f64 v[34:35], v[48:49], s[16:17], -v[36:37]
	v_fma_f64 v[148:149], v[106:107], s[16:17], -v[146:147]
	v_add_f64 v[32:33], v[34:35], v[32:33]
	v_fma_f64 v[34:35], v[96:97], s[2:3], -v[38:39]
	v_add_f64 v[26:27], v[148:149], v[26:27]
	v_mul_f64 v[148:149], v[128:129], s[10:11]
	v_add_f64 v[32:33], v[34:35], v[32:33]
	v_fma_f64 v[34:35], v[98:99], s[14:15], -v[140:141]
	v_fmac_f64_e32 v[142:143], s[20:21], v[100:101]
	v_fma_f64 v[150:151], v[112:113], s[2:3], -v[148:149]
	v_add_f64 v[32:33], v[34:35], v[32:33]
	v_fmac_f64_e32 v[144:145], s[6:7], v[102:103]
	v_add_f64 v[34:35], v[0:1], v[142:143]
	v_add_f64 v[26:27], v[150:151], v[26:27]
	v_mul_f64 v[150:151], v[132:133], s[22:23]
	v_add_f64 v[34:35], v[144:145], v[34:35]
	v_fmac_f64_e32 v[146:147], s[16:17], v[106:107]
	v_fma_f64 v[152:153], v[114:115], s[14:15], -v[150:151]
	v_mul_f64 v[154:155], v[134:135], s[4:5]
	v_add_f64 v[34:35], v[146:147], v[34:35]
	v_fmac_f64_e32 v[148:149], s[2:3], v[112:113]
	v_add_f64 v[152:153], v[152:153], v[26:27]
	v_fma_f64 v[26:27], s[0:1], v[126:127], v[154:155]
	v_mul_f64 v[156:157], v[136:137], s[4:5]
	v_add_f64 v[34:35], v[148:149], v[34:35]
	v_fmac_f64_e32 v[150:151], s[14:15], v[114:115]
	v_fma_f64 v[36:37], v[126:127], s[0:1], -v[154:155]
	v_mul_f64 v[140:141], v[108:109], s[22:23]
	v_add_f64 v[26:27], v[26:27], v[24:25]
	v_fma_f64 v[24:25], v[120:121], s[0:1], -v[156:157]
	v_add_f64 v[34:35], v[150:151], v[34:35]
	v_add_f64 v[38:39], v[36:37], v[32:33]
	v_fmac_f64_e32 v[156:157], s[0:1], v[120:121]
	v_fma_f64 v[32:33], s[14:15], v[94:95], v[140:141]
	v_mul_f64 v[142:143], v[110:111], s[18:19]
	v_add_f64 v[36:37], v[156:157], v[34:35]
	v_add_f64 v[32:33], v[2:3], v[32:33]
	v_fma_f64 v[34:35], s[16:17], v[50:51], v[142:143]
	v_mul_f64 v[144:145], v[104:105], s[12:13]
	v_add_f64 v[32:33], v[34:35], v[32:33]
	v_fma_f64 v[34:35], s[6:7], v[48:49], v[144:145]
	v_mul_f64 v[146:147], v[116:117], s[30:31]
	;; [unrolled: 3-line block ×4, first 2 shown]
	v_add_f64 v[24:25], v[24:25], v[152:153]
	v_add_f64 v[32:33], v[34:35], v[32:33]
	v_fma_f64 v[34:35], v[100:101], s[14:15], -v[150:151]
	v_mul_f64 v[152:153], v[130:131], s[18:19]
	v_fma_f64 v[140:141], v[94:95], s[14:15], -v[140:141]
	v_add_f64 v[34:35], v[0:1], v[34:35]
	v_fma_f64 v[154:155], v[102:103], s[16:17], -v[152:153]
	v_fma_f64 v[142:143], v[50:51], s[16:17], -v[142:143]
	v_add_f64 v[140:141], v[2:3], v[140:141]
	v_add_f64 v[34:35], v[154:155], v[34:35]
	v_mul_f64 v[154:155], v[124:125], s[12:13]
	v_add_f64 v[140:141], v[142:143], v[140:141]
	v_fma_f64 v[142:143], v[48:49], s[6:7], -v[144:145]
	v_fma_f64 v[156:157], v[106:107], s[6:7], -v[154:155]
	v_add_f64 v[140:141], v[142:143], v[140:141]
	v_fma_f64 v[142:143], v[96:97], s[0:1], -v[146:147]
	v_add_f64 v[34:35], v[156:157], v[34:35]
	v_mul_f64 v[156:157], v[128:129], s[30:31]
	v_add_f64 v[140:141], v[142:143], v[140:141]
	v_fma_f64 v[142:143], v[98:99], s[20:21], -v[148:149]
	v_fmac_f64_e32 v[150:151], s[14:15], v[100:101]
	v_fma_f64 v[158:159], v[112:113], s[0:1], -v[156:157]
	v_add_f64 v[140:141], v[142:143], v[140:141]
	v_fmac_f64_e32 v[152:153], s[16:17], v[102:103]
	v_add_f64 v[142:143], v[0:1], v[150:151]
	v_add_f64 v[34:35], v[158:159], v[34:35]
	v_mul_f64 v[158:159], v[132:133], s[24:25]
	v_add_f64 v[142:143], v[152:153], v[142:143]
	v_fmac_f64_e32 v[154:155], s[6:7], v[106:107]
	v_fma_f64 v[160:161], v[114:115], s[20:21], -v[158:159]
	v_mul_f64 v[162:163], v[134:135], s[10:11]
	v_add_f64 v[142:143], v[154:155], v[142:143]
	v_fmac_f64_e32 v[156:157], s[0:1], v[112:113]
	v_add_f64 v[160:161], v[160:161], v[34:35]
	v_fma_f64 v[34:35], s[2:3], v[126:127], v[162:163]
	v_mul_f64 v[164:165], v[136:137], s[10:11]
	v_add_f64 v[142:143], v[156:157], v[142:143]
	v_fmac_f64_e32 v[158:159], s[20:21], v[114:115]
	s_mov_b32 s11, 0xbfddbe06
	v_add_f64 v[34:35], v[34:35], v[32:33]
	v_fma_f64 v[32:33], v[120:121], s[2:3], -v[164:165]
	v_add_f64 v[144:145], v[158:159], v[142:143]
	v_fma_f64 v[142:143], v[126:127], s[2:3], -v[162:163]
	v_fmac_f64_e32 v[164:165], s[2:3], v[120:121]
	v_mul_f64 v[146:147], v[108:109], s[10:11]
	v_add_f64 v[142:143], v[142:143], v[140:141]
	v_add_f64 v[140:141], v[164:165], v[144:145]
	v_mul_f64 v[144:145], v[110:111], s[22:23]
	v_fma_f64 v[108:109], s[2:3], v[94:95], v[146:147]
	v_add_f64 v[108:109], v[2:3], v[108:109]
	v_fma_f64 v[110:111], s[14:15], v[50:51], v[144:145]
	v_mul_f64 v[104:105], v[104:105], s[26:27]
	v_add_f64 v[108:109], v[110:111], v[108:109]
	v_fma_f64 v[110:111], s[20:21], v[48:49], v[104:105]
	v_mul_f64 v[116:117], v[116:117], s[18:19]
	;; [unrolled: 3-line block ×3, first 2 shown]
	v_fma_f64 v[94:95], v[94:95], s[2:3], -v[146:147]
	v_add_f64 v[108:109], v[110:111], v[108:109]
	v_fma_f64 v[110:111], s[0:1], v[98:99], v[118:119]
	v_mul_f64 v[122:123], v[122:123], s[10:11]
	v_fma_f64 v[50:51], v[50:51], s[14:15], -v[144:145]
	v_add_f64 v[94:95], v[2:3], v[94:95]
	v_add_f64 v[2:3], v[2:3], v[46:47]
	;; [unrolled: 1-line block ×3, first 2 shown]
	v_fma_f64 v[110:111], v[100:101], s[2:3], -v[122:123]
	v_fma_f64 v[48:49], v[48:49], s[20:21], -v[104:105]
	v_add_f64 v[50:51], v[50:51], v[94:95]
	v_fmac_f64_e32 v[122:123], s[2:3], v[100:101]
	v_add_f64 v[2:3], v[92:93], v[2:3]
	v_add_f64 v[110:111], v[0:1], v[110:111]
	v_add_f64 v[48:49], v[48:49], v[50:51]
	v_add_f64 v[50:51], v[0:1], v[122:123]
	v_add_f64 v[0:1], v[0:1], v[84:85]
	v_add_f64 v[2:3], v[90:91], v[2:3]
	v_add_f64 v[2:3], v[88:89], v[2:3]
	v_add_f64 v[0:1], v[82:83], v[0:1]
	v_add_f64 v[2:3], v[64:65], v[2:3]
	v_add_f64 v[0:1], v[76:77], v[0:1]
	v_mul_f64 v[130:131], v[130:131], s[22:23]
	v_add_f64 v[2:3], v[56:57], v[2:3]
	v_add_f64 v[0:1], v[66:67], v[0:1]
	v_fma_f64 v[148:149], v[102:103], s[14:15], -v[130:131]
	v_mul_f64 v[124:125], v[124:125], s[26:27]
	v_add_f64 v[2:3], v[52:53], v[2:3]
	v_add_f64 v[0:1], v[72:73], v[0:1]
	v_add_f64 v[110:111], v[148:149], v[110:111]
	v_fma_f64 v[148:149], v[106:107], s[20:21], -v[124:125]
	v_mul_f64 v[128:129], v[128:129], s[18:19]
	v_add_f64 v[2:3], v[60:61], v[2:3]
	;; [unrolled: 5-line block ×3, first 2 shown]
	v_add_f64 v[0:1], v[58:59], v[0:1]
	v_add_f64 v[110:111], v[148:149], v[110:111]
	v_fma_f64 v[148:149], v[114:115], s[0:1], -v[132:133]
	v_fma_f64 v[98:99], v[98:99], s[0:1], -v[118:119]
	v_fmac_f64_e32 v[132:133], s[0:1], v[114:115]
	v_add_f64 v[2:3], v[40:41], v[2:3]
	v_add_f64 v[0:1], v[54:55], v[0:1]
	v_mad_u64_u32 v[40:41], s[0:1], s8, v138, 0
	v_add_f64 v[2:3], v[42:43], v[2:3]
	v_add_f64 v[0:1], v[62:63], v[0:1]
	v_mov_b32_e32 v42, v41
	v_add_f64 v[0:1], v[74:75], v[0:1]
	v_mad_u64_u32 v[42:43], s[0:1], s9, v138, v[42:43]
	v_add_f64 v[0:1], v[78:79], v[0:1]
	v_mov_b32_e32 v41, v42
	v_add_f64 v[2:3], v[44:45], v[2:3]
	v_add_f64 v[0:1], v[80:81], v[0:1]
	v_lshl_add_u64 v[40:41], v[40:41], 4, v[68:69]
	v_fmac_f64_e32 v[130:131], s[14:15], v[102:103]
	global_store_dwordx4 v[40:41], v[0:3], off
	v_fmac_f64_e32 v[124:125], s[20:21], v[106:107]
	v_add_f64 v[50:51], v[130:131], v[50:51]
	v_add_u32_e32 v3, 63, v138
	v_mad_u64_u32 v[0:1], s[0:1], s8, v3, 0
	v_mul_f64 v[134:135], v[134:135], s[12:13]
	v_fma_f64 v[96:97], v[96:97], s[16:17], -v[116:117]
	v_fmac_f64_e32 v[128:129], s[16:17], v[112:113]
	v_add_f64 v[50:51], v[124:125], v[50:51]
	v_mov_b32_e32 v2, v1
	v_add_f64 v[148:149], v[148:149], v[110:111]
	v_fma_f64 v[110:111], s[6:7], v[126:127], v[134:135]
	v_mul_f64 v[136:137], v[136:137], s[12:13]
	v_add_f64 v[48:49], v[96:97], v[48:49]
	v_add_f64 v[50:51], v[128:129], v[50:51]
	v_mad_u64_u32 v[2:3], s[0:1], s9, v3, v[2:3]
	v_add_f64 v[110:111], v[110:111], v[108:109]
	v_fma_f64 v[108:109], v[120:121], s[6:7], -v[136:137]
	v_fma_f64 v[126:127], v[126:127], s[6:7], -v[134:135]
	v_add_f64 v[48:49], v[98:99], v[48:49]
	v_fmac_f64_e32 v[136:137], s[6:7], v[120:121]
	v_add_f64 v[94:95], v[132:133], v[50:51]
	v_mov_b32_e32 v1, v2
	v_add_f64 v[50:51], v[126:127], v[48:49]
	v_add_f64 v[48:49], v[136:137], v[94:95]
	v_lshl_add_u64 v[0:1], v[0:1], 4, v[68:69]
	v_add_u32_e32 v3, 0x7e, v138
	global_store_dwordx4 v[0:1], v[48:51], off
	v_mad_u64_u32 v[0:1], s[0:1], s8, v3, 0
	v_mov_b32_e32 v2, v1
	v_mad_u64_u32 v[2:3], s[0:1], s9, v3, v[2:3]
	v_mov_b32_e32 v1, v2
	v_lshl_add_u64 v[0:1], v[0:1], 4, v[68:69]
	v_add_u32_e32 v3, 0xbd, v138
	global_store_dwordx4 v[0:1], v[140:143], off
	v_mad_u64_u32 v[0:1], s[0:1], s8, v3, 0
	v_mov_b32_e32 v2, v1
	v_mad_u64_u32 v[2:3], s[0:1], s9, v3, v[2:3]
	v_mov_b32_e32 v1, v2
	;; [unrolled: 7-line block ×10, first 2 shown]
	v_add_f64 v[32:33], v[32:33], v[160:161]
	v_lshl_add_u64 v[0:1], v[0:1], 4, v[68:69]
	v_add_u32_e32 v3, 0x2f4, v138
	global_store_dwordx4 v[0:1], v[32:35], off
	v_mad_u64_u32 v[0:1], s[0:1], s8, v3, 0
	v_mov_b32_e32 v2, v1
	v_mad_u64_u32 v[2:3], s[0:1], s9, v3, v[2:3]
	v_mov_b32_e32 v1, v2
	v_add_f64 v[108:109], v[108:109], v[148:149]
	v_lshl_add_u64 v[0:1], v[0:1], 4, v[68:69]
	global_store_dwordx4 v[0:1], v[108:111], off
	s_endpgm
	.section	.rodata,"a",@progbits
	.p2align	6, 0x0
	.amdhsa_kernel fft_rtc_back_len819_factors_9_7_13_wgs_117_tpt_117_dp_ip_CI_sbrr_dirReg
		.amdhsa_group_segment_fixed_size 0
		.amdhsa_private_segment_fixed_size 0
		.amdhsa_kernarg_size 88
		.amdhsa_user_sgpr_count 2
		.amdhsa_user_sgpr_dispatch_ptr 0
		.amdhsa_user_sgpr_queue_ptr 0
		.amdhsa_user_sgpr_kernarg_segment_ptr 1
		.amdhsa_user_sgpr_dispatch_id 0
		.amdhsa_user_sgpr_kernarg_preload_length 0
		.amdhsa_user_sgpr_kernarg_preload_offset 0
		.amdhsa_user_sgpr_private_segment_size 0
		.amdhsa_uses_dynamic_stack 0
		.amdhsa_enable_private_segment 0
		.amdhsa_system_sgpr_workgroup_id_x 1
		.amdhsa_system_sgpr_workgroup_id_y 0
		.amdhsa_system_sgpr_workgroup_id_z 0
		.amdhsa_system_sgpr_workgroup_info 0
		.amdhsa_system_vgpr_workitem_id 0
		.amdhsa_next_free_vgpr 166
		.amdhsa_next_free_sgpr 36
		.amdhsa_accum_offset 168
		.amdhsa_reserve_vcc 1
		.amdhsa_float_round_mode_32 0
		.amdhsa_float_round_mode_16_64 0
		.amdhsa_float_denorm_mode_32 3
		.amdhsa_float_denorm_mode_16_64 3
		.amdhsa_dx10_clamp 1
		.amdhsa_ieee_mode 1
		.amdhsa_fp16_overflow 0
		.amdhsa_tg_split 0
		.amdhsa_exception_fp_ieee_invalid_op 0
		.amdhsa_exception_fp_denorm_src 0
		.amdhsa_exception_fp_ieee_div_zero 0
		.amdhsa_exception_fp_ieee_overflow 0
		.amdhsa_exception_fp_ieee_underflow 0
		.amdhsa_exception_fp_ieee_inexact 0
		.amdhsa_exception_int_div_zero 0
	.end_amdhsa_kernel
	.text
.Lfunc_end0:
	.size	fft_rtc_back_len819_factors_9_7_13_wgs_117_tpt_117_dp_ip_CI_sbrr_dirReg, .Lfunc_end0-fft_rtc_back_len819_factors_9_7_13_wgs_117_tpt_117_dp_ip_CI_sbrr_dirReg
                                        ; -- End function
	.section	.AMDGPU.csdata,"",@progbits
; Kernel info:
; codeLenInByte = 8432
; NumSgprs: 42
; NumVgprs: 166
; NumAgprs: 0
; TotalNumVgprs: 166
; ScratchSize: 0
; MemoryBound: 1
; FloatMode: 240
; IeeeMode: 1
; LDSByteSize: 0 bytes/workgroup (compile time only)
; SGPRBlocks: 5
; VGPRBlocks: 20
; NumSGPRsForWavesPerEU: 42
; NumVGPRsForWavesPerEU: 166
; AccumOffset: 168
; Occupancy: 3
; WaveLimiterHint : 1
; COMPUTE_PGM_RSRC2:SCRATCH_EN: 0
; COMPUTE_PGM_RSRC2:USER_SGPR: 2
; COMPUTE_PGM_RSRC2:TRAP_HANDLER: 0
; COMPUTE_PGM_RSRC2:TGID_X_EN: 1
; COMPUTE_PGM_RSRC2:TGID_Y_EN: 0
; COMPUTE_PGM_RSRC2:TGID_Z_EN: 0
; COMPUTE_PGM_RSRC2:TIDIG_COMP_CNT: 0
; COMPUTE_PGM_RSRC3_GFX90A:ACCUM_OFFSET: 41
; COMPUTE_PGM_RSRC3_GFX90A:TG_SPLIT: 0
	.text
	.p2alignl 6, 3212836864
	.fill 256, 4, 3212836864
	.type	__hip_cuid_8ed53e09b2f95180,@object ; @__hip_cuid_8ed53e09b2f95180
	.section	.bss,"aw",@nobits
	.globl	__hip_cuid_8ed53e09b2f95180
__hip_cuid_8ed53e09b2f95180:
	.byte	0                               ; 0x0
	.size	__hip_cuid_8ed53e09b2f95180, 1

	.ident	"AMD clang version 19.0.0git (https://github.com/RadeonOpenCompute/llvm-project roc-6.4.0 25133 c7fe45cf4b819c5991fe208aaa96edf142730f1d)"
	.section	".note.GNU-stack","",@progbits
	.addrsig
	.addrsig_sym __hip_cuid_8ed53e09b2f95180
	.amdgpu_metadata
---
amdhsa.kernels:
  - .agpr_count:     0
    .args:
      - .actual_access:  read_only
        .address_space:  global
        .offset:         0
        .size:           8
        .value_kind:     global_buffer
      - .offset:         8
        .size:           8
        .value_kind:     by_value
      - .actual_access:  read_only
        .address_space:  global
        .offset:         16
        .size:           8
        .value_kind:     global_buffer
      - .actual_access:  read_only
        .address_space:  global
        .offset:         24
        .size:           8
        .value_kind:     global_buffer
      - .offset:         32
        .size:           8
        .value_kind:     by_value
      - .actual_access:  read_only
        .address_space:  global
        .offset:         40
        .size:           8
        .value_kind:     global_buffer
      - .actual_access:  read_only
        .address_space:  global
        .offset:         48
        .size:           8
        .value_kind:     global_buffer
      - .offset:         56
        .size:           4
        .value_kind:     by_value
      - .actual_access:  read_only
        .address_space:  global
        .offset:         64
        .size:           8
        .value_kind:     global_buffer
      - .actual_access:  read_only
        .address_space:  global
        .offset:         72
        .size:           8
        .value_kind:     global_buffer
      - .address_space:  global
        .offset:         80
        .size:           8
        .value_kind:     global_buffer
    .group_segment_fixed_size: 0
    .kernarg_segment_align: 8
    .kernarg_segment_size: 88
    .language:       OpenCL C
    .language_version:
      - 2
      - 0
    .max_flat_workgroup_size: 117
    .name:           fft_rtc_back_len819_factors_9_7_13_wgs_117_tpt_117_dp_ip_CI_sbrr_dirReg
    .private_segment_fixed_size: 0
    .sgpr_count:     42
    .sgpr_spill_count: 0
    .symbol:         fft_rtc_back_len819_factors_9_7_13_wgs_117_tpt_117_dp_ip_CI_sbrr_dirReg.kd
    .uniform_work_group_size: 1
    .uses_dynamic_stack: false
    .vgpr_count:     166
    .vgpr_spill_count: 0
    .wavefront_size: 64
amdhsa.target:   amdgcn-amd-amdhsa--gfx950
amdhsa.version:
  - 1
  - 2
...

	.end_amdgpu_metadata
